;; amdgpu-corpus repo=zjin-lcf/HeCBench kind=compiled arch=gfx906 opt=O3
	.amdgcn_target "amdgcn-amd-amdhsa--gfx906"
	.amdhsa_code_object_version 6
	.text
	.protected	_Z3mhaPKfS0_S0_iiiiifiPf ; -- Begin function _Z3mhaPKfS0_S0_iiiiifiPf
	.globl	_Z3mhaPKfS0_S0_iiiiifiPf
	.p2align	8
	.type	_Z3mhaPKfS0_S0_iiiiifiPf,@function
_Z3mhaPKfS0_S0_iiiiifiPf:               ; @_Z3mhaPKfS0_S0_iiiiifiPf
; %bb.0:
	s_load_dwordx4 s[12:15], s[4:5], 0x1c
	s_load_dwordx2 s[8:9], s[4:5], 0x2c
	s_waitcnt lgkmcnt(0)
	s_abs_i32 s0, s15
	v_cvt_f32_u32_e32 v1, s0
	s_sub_i32 s3, 0, s0
	v_cvt_f32_u32_e32 v2, s15
	s_abs_i32 s2, s13
	v_rcp_iflag_f32_e32 v1, v1
	s_xor_b32 s1, s13, s15
	v_rcp_iflag_f32_e32 v2, v2
	s_ashr_i32 s1, s1, 31
	v_mul_f32_e32 v1, 0x4f7ffffe, v1
	v_cvt_u32_f32_e32 v1, v1
	v_mul_f32_e32 v2, 0x4f7ffffe, v2
	v_cvt_u32_f32_e32 v2, v2
	v_readfirstlane_b32 s7, v1
	s_mul_i32 s3, s3, s7
	s_mul_hi_u32 s3, s7, s3
	s_add_i32 s7, s7, s3
	s_mul_hi_u32 s3, s2, s7
	s_mul_i32 s7, s3, s0
	s_sub_i32 s2, s2, s7
	s_add_i32 s10, s3, 1
	s_sub_i32 s7, s2, s0
	s_cmp_ge_u32 s2, s0
	s_cselect_b32 s3, s10, s3
	s_cselect_b32 s2, s7, s2
	s_add_i32 s7, s3, 1
	s_cmp_ge_u32 s2, s0
	s_cselect_b32 s0, s7, s3
	s_xor_b32 s0, s0, s1
	s_sub_i32 s25, s0, s1
	s_sub_i32 s0, 0, s15
	v_readfirstlane_b32 s1, v2
	s_mul_i32 s0, s0, s1
	s_mul_hi_u32 s0, s1, s0
	s_add_i32 s1, s1, s0
	s_mul_hi_u32 s0, s6, s1
	s_mul_i32 s1, s0, s15
	s_sub_i32 s1, s6, s1
	s_add_i32 s2, s0, 1
	s_sub_i32 s3, s1, s15
	s_cmp_ge_u32 s1, s15
	s_cselect_b32 s0, s2, s0
	s_cselect_b32 s1, s3, s1
	s_add_i32 s2, s0, 1
	s_cmp_ge_u32 s1, s15
	s_cselect_b32 s24, s2, s0
	s_mul_i32 s0, s24, s15
	s_sub_i32 s0, s6, s0
	s_mul_i32 s11, s24, s13
	s_mul_i32 s10, s0, s25
	v_cmp_gt_u32_e64 s[0:1], s25, v0
	s_and_saveexec_b64 s[2:3], s[0:1]
	s_cbranch_execz .LBB0_2
; %bb.1:
	s_load_dwordx2 s[6:7], s[4:5], 0x0
	s_add_i32 s15, s11, s10
	v_add_u32_e32 v1, s15, v0
	v_ashrrev_i32_e32 v2, 31, v1
	v_lshlrev_b64 v[1:2], 2, v[1:2]
	s_waitcnt lgkmcnt(0)
	v_mov_b32_e32 v3, s7
	v_add_co_u32_e32 v1, vcc, s6, v1
	v_addc_co_u32_e32 v2, vcc, v3, v2, vcc
	global_load_dword v1, v[1:2], off
	v_lshl_add_u32 v2, v0, 2, 24
	s_waitcnt vmcnt(0)
	ds_write_b32 v2, v1
.LBB0_2:
	s_or_b64 exec, exec, s[2:3]
	s_load_dwordx2 s[18:19], s[4:5], 0x10
	s_load_dwordx2 s[16:17], s[4:5], 0x38
	v_cmp_gt_u32_e32 vcc, s12, v0
	v_mov_b32_e32 v3, 0x9e3ce508
	s_waitcnt lgkmcnt(0)
	s_barrier
	s_and_saveexec_b64 s[6:7], vcc
	s_cbranch_execz .LBB0_13
; %bb.3:
	s_cmp_lt_i32 s25, 1
	s_cbranch_scc1 .LBB0_8
; %bb.4:
	v_mul_lo_u32 v1, s13, v0
	s_load_dwordx2 s[4:5], s[4:5], 0x8
	s_mul_i32 s20, s11, s12
	v_mov_b32_e32 v2, 0
	s_ashr_i32 s21, s20, 31
	s_ashr_i32 s11, s10, 31
	v_lshlrev_b64 v[3:4], 2, v[1:2]
	s_cmp_lt_u32 s25, 8
	s_cbranch_scc1 .LBB0_9
; %bb.5:
	s_and_b32 s22, s25, 0x7ffffff8
	s_lshl_b64 s[2:3], s[20:21], 2
	s_lshl_b64 s[26:27], s[10:11], 2
	s_add_u32 s2, s2, s26
	s_addc_u32 s3, s3, s27
	s_waitcnt lgkmcnt(0)
	s_add_u32 s2, s4, s2
	s_addc_u32 s3, s5, s3
	v_mov_b32_e32 v1, s3
	v_add_co_u32_e64 v2, s[2:3], s2, v3
	v_addc_co_u32_e64 v1, s[2:3], v1, v4, s[2:3]
	v_add_co_u32_e64 v5, s[2:3], 28, v2
	v_addc_co_u32_e64 v6, s[2:3], 0, v1, s[2:3]
	s_mov_b32 s13, 0
	v_mov_b32_e32 v2, 0
	s_mov_b32 s15, 24
.LBB0_6:                                ; =>This Inner Loop Header: Depth=1
	global_load_dwordx4 v[7:10], v[5:6], off offset:-28
	global_load_dwordx4 v[11:14], v[5:6], off offset:-12
	v_mov_b32_e32 v1, s15
	ds_read2_b32 v[15:16], v1 offset1:1
	ds_read2_b32 v[17:18], v1 offset0:2 offset1:3
	ds_read2_b32 v[19:20], v1 offset0:4 offset1:5
	;; [unrolled: 1-line block ×3, first 2 shown]
	s_add_i32 s13, s13, 8
	s_add_i32 s15, s15, 32
	v_add_co_u32_e64 v5, s[2:3], 32, v5
	v_addc_co_u32_e64 v6, s[2:3], 0, v6, s[2:3]
	s_cmp_eq_u32 s22, s13
	s_waitcnt vmcnt(1) lgkmcnt(3)
	v_fmac_f32_e32 v2, v15, v7
	v_fmac_f32_e32 v2, v16, v8
	s_waitcnt lgkmcnt(2)
	v_fmac_f32_e32 v2, v17, v9
	v_fmac_f32_e32 v2, v18, v10
	s_waitcnt vmcnt(0) lgkmcnt(1)
	v_fmac_f32_e32 v2, v19, v11
	v_fmac_f32_e32 v2, v20, v12
	s_waitcnt lgkmcnt(0)
	v_fmac_f32_e32 v2, v21, v13
	v_fmac_f32_e32 v2, v22, v14
	s_cbranch_scc0 .LBB0_6
; %bb.7:
	s_and_b32 s13, s25, 7
	s_cmp_eq_u32 s13, 0
	s_mov_b32 s23, 0
	s_cbranch_scc0 .LBB0_10
	s_branch .LBB0_12
.LBB0_8:
	v_mov_b32_e32 v2, 0
	s_branch .LBB0_12
.LBB0_9:
	s_mov_b32 s22, 0
	s_and_b32 s13, s25, 7
	s_cmp_eq_u32 s13, 0
	s_mov_b32 s23, 0
	s_cbranch_scc1 .LBB0_12
.LBB0_10:
	s_lshl_b32 s2, s22, 2
	s_add_i32 s15, s2, 24
	s_lshl_b64 s[2:3], s[20:21], 2
	s_lshl_b64 s[20:21], s[10:11], 2
	s_add_u32 s11, s2, s20
	s_addc_u32 s20, s3, s21
	s_lshl_b64 s[2:3], s[22:23], 2
	s_add_u32 s2, s11, s2
	s_addc_u32 s3, s20, s3
	s_waitcnt lgkmcnt(0)
	s_add_u32 s2, s4, s2
	s_addc_u32 s3, s5, s3
	v_mov_b32_e32 v1, s3
	v_add_co_u32_e64 v3, s[2:3], s2, v3
	v_addc_co_u32_e64 v4, s[2:3], v1, v4, s[2:3]
.LBB0_11:                               ; =>This Inner Loop Header: Depth=1
	global_load_dword v1, v[3:4], off
	v_mov_b32_e32 v5, s15
	ds_read_b32 v5, v5
	s_add_i32 s15, s15, 4
	v_add_co_u32_e64 v3, s[2:3], 4, v3
	s_add_i32 s13, s13, -1
	v_addc_co_u32_e64 v4, s[2:3], 0, v4, s[2:3]
	s_cmp_lg_u32 s13, 0
	s_waitcnt vmcnt(0) lgkmcnt(0)
	v_fmac_f32_e32 v2, v5, v1
	s_cbranch_scc1 .LBB0_11
.LBB0_12:
	v_mul_f32_e32 v3, s8, v2
.LBB0_13:
	s_or_b64 exec, exec, s[6:7]
	s_nop 0
	v_mov_b32_dpp v2, v3 quad_perm:[1,0,3,2] row_mask:0xf bank_mask:0xf bound_ctrl:1
	v_cmp_gt_f32_e64 s[2:3], v3, v2
	v_cndmask_b32_e64 v2, v2, v3, s[2:3]
	v_mbcnt_lo_u32_b32 v1, -1, 0
	v_mbcnt_hi_u32_b32 v1, -1, v1
	v_mov_b32_dpp v4, v2 quad_perm:[2,3,0,1] row_mask:0xf bank_mask:0xf bound_ctrl:1
	v_cmp_gt_f32_e64 s[2:3], v2, v4
	v_cndmask_b32_e64 v2, v4, v2, s[2:3]
	v_lshrrev_b32_e32 v5, 4, v0
	s_nop 0
	v_mov_b32_dpp v4, v2 row_ror:4 row_mask:0xf bank_mask:0xf bound_ctrl:1
	v_cmp_gt_f32_e64 s[2:3], v2, v4
	v_cndmask_b32_e64 v2, v4, v2, s[2:3]
	s_nop 1
	v_mov_b32_dpp v4, v2 row_ror:8 row_mask:0xf bank_mask:0xf bound_ctrl:1
	v_cmp_gt_f32_e64 s[2:3], v2, v4
	v_cndmask_b32_e64 v2, v4, v2, s[2:3]
	s_nop 1
	v_mov_b32_dpp v4, v2 row_bcast:15 row_mask:0xf bank_mask:0xf bound_ctrl:1
	v_cmp_gt_f32_e64 s[2:3], v2, v4
	v_cndmask_b32_e64 v2, v4, v2, s[2:3]
	s_nop 1
	v_mov_b32_dpp v4, v2 row_bcast:31 row_mask:0xf bank_mask:0xf bound_ctrl:1
	v_cmp_gt_f32_e64 s[2:3], v2, v4
	v_cndmask_b32_e64 v4, v4, v2, s[2:3]
	v_lshlrev_b32_e32 v2, 2, v1
	v_or_b32_e32 v6, 0xfc, v2
	ds_bpermute_b32 v7, v6, v4
	v_cmp_eq_u32_e64 s[2:3], 0, v1
	s_waitcnt lgkmcnt(0)
	s_and_saveexec_b64 s[4:5], s[2:3]
; %bb.14:
	v_and_b32_e32 v4, 60, v5
	ds_write_b32 v4, v7
; %bb.15:
	s_or_b64 exec, exec, s[4:5]
	v_cmp_gt_u32_e64 s[4:5], 64, v0
	v_and_b32_e32 v4, 3, v1
	v_or_b32_e32 v2, 8, v2
	s_waitcnt lgkmcnt(0)
	s_barrier
	s_and_saveexec_b64 s[20:21], s[4:5]
	s_cbranch_execz .LBB0_17
; %bb.16:
	v_lshlrev_b32_e32 v7, 2, v4
	ds_read_b32 v7, v7
	v_cmp_ne_u32_e64 s[6:7], 3, v4
	v_addc_co_u32_e64 v8, s[6:7], 0, v1, s[6:7]
	v_lshlrev_b32_e32 v8, 2, v8
	s_waitcnt lgkmcnt(0)
	ds_bpermute_b32 v8, v8, v7
	s_waitcnt lgkmcnt(0)
	v_cmp_lt_f32_e64 s[6:7], v7, v8
	v_cndmask_b32_e64 v7, v7, v8, s[6:7]
	ds_bpermute_b32 v8, v2, v7
	s_waitcnt lgkmcnt(0)
	v_cmp_lt_f32_e64 s[6:7], v7, v8
	v_cndmask_b32_e64 v7, v7, v8, s[6:7]
.LBB0_17:
	s_or_b64 exec, exec, s[20:21]
	v_cmp_eq_u32_e64 s[6:7], 0, v0
	s_and_saveexec_b64 s[20:21], s[6:7]
; %bb.18:
	v_mov_b32_e32 v8, 0
	ds_write_b32 v8, v7 offset:20
; %bb.19:
	s_or_b64 exec, exec, s[20:21]
	v_mov_b32_e32 v7, 0
	s_waitcnt lgkmcnt(0)
	s_barrier
	ds_read_b32 v7, v7 offset:20
	s_sub_i32 s8, 0, s9
	v_cvt_f32_i32_e32 v8, s8
	s_waitcnt lgkmcnt(0)
	v_sub_f32_e32 v3, v3, v7
	v_cmp_lt_f32_e64 s[8:9], v3, v8
	v_cndmask_b32_e64 v3, v3, v8, s[8:9]
	s_mov_b32 s8, 0x3fb8aa3b
	v_mul_f32_e32 v7, 0x3fb8aa3b, v3
	v_fma_f32 v8, v3, s8, -v7
	v_rndne_f32_e32 v9, v7
	v_fmac_f32_e32 v8, 0x32a5705f, v3
	v_sub_f32_e32 v7, v7, v9
	v_add_f32_e32 v7, v7, v8
	v_exp_f32_e32 v7, v7
	v_cvt_i32_f32_e32 v8, v9
	s_mov_b32 s8, 0xc2ce8ed0
	v_cmp_ngt_f32_e64 s[8:9], s8, v3
	v_ldexp_f32 v7, v7, v8
	v_cndmask_b32_e64 v7, 0, v7, s[8:9]
	s_mov_b32 s8, 0x42b17218
	v_mov_b32_e32 v8, 0x7f800000
	v_cmp_nlt_f32_e64 s[8:9], s8, v3
	v_cndmask_b32_e64 v3, v8, v7, s[8:9]
	v_cndmask_b32_e32 v7, 0, v3, vcc
	s_nop 1
	v_add_f32_dpp v7, v7, v7 quad_perm:[1,0,3,2] row_mask:0xf bank_mask:0xf bound_ctrl:1
	s_nop 1
	v_add_f32_dpp v7, v7, v7 quad_perm:[2,3,0,1] row_mask:0xf bank_mask:0xf bound_ctrl:1
	s_nop 1
	v_add_f32_dpp v7, v7, v7 row_ror:4 row_mask:0xf bank_mask:0xf bound_ctrl:1
	s_nop 1
	v_add_f32_dpp v7, v7, v7 row_ror:8 row_mask:0xf bank_mask:0xf bound_ctrl:1
	s_nop 1
	v_add_f32_dpp v7, v7, v7 row_bcast:15 row_mask:0xf bank_mask:0xf bound_ctrl:1
	s_nop 1
	v_add_f32_dpp v7, v7, v7 row_bcast:31 row_mask:0xf bank_mask:0xf bound_ctrl:1
	ds_bpermute_b32 v6, v6, v7
	s_and_saveexec_b64 s[8:9], s[2:3]
	s_cbranch_execz .LBB0_21
; %bb.20:
	v_and_b32_e32 v5, 60, v5
	s_waitcnt lgkmcnt(0)
	ds_write_b32 v5, v6
.LBB0_21:
	s_or_b64 exec, exec, s[8:9]
	s_waitcnt lgkmcnt(0)
	s_barrier
	s_and_saveexec_b64 s[8:9], s[4:5]
	s_cbranch_execz .LBB0_23
; %bb.22:
	v_lshlrev_b32_e32 v5, 2, v4
	ds_read_b32 v5, v5
	v_cmp_ne_u32_e64 s[2:3], 3, v4
	v_addc_co_u32_e64 v1, s[2:3], 0, v1, s[2:3]
	v_lshlrev_b32_e32 v1, 2, v1
	s_waitcnt lgkmcnt(0)
	ds_bpermute_b32 v1, v1, v5
	s_waitcnt lgkmcnt(0)
	v_add_f32_e32 v1, v5, v1
	ds_bpermute_b32 v2, v2, v1
	s_waitcnt lgkmcnt(0)
	v_add_f32_e32 v6, v1, v2
.LBB0_23:
	s_or_b64 exec, exec, s[8:9]
	s_and_saveexec_b64 s[2:3], s[6:7]
; %bb.24:
	v_mov_b32_e32 v1, 0
	ds_write_b32 v1, v6 offset:16
; %bb.25:
	s_or_b64 exec, exec, s[2:3]
	s_lshl_b32 s2, s25, 2
	s_add_i32 s4, s2, 24
	s_waitcnt lgkmcnt(0)
	s_barrier
	s_and_saveexec_b64 s[2:3], vcc
	s_cbranch_execz .LBB0_27
; %bb.26:
	v_mov_b32_e32 v1, 0
	ds_read_b32 v1, v1 offset:16
	s_waitcnt lgkmcnt(0)
	v_div_scale_f32 v2, s[6:7], v1, v1, v3
	v_div_scale_f32 v4, vcc, v3, v1, v3
	v_rcp_f32_e32 v5, v2
	v_fma_f32 v6, -v2, v5, 1.0
	v_fmac_f32_e32 v5, v6, v5
	v_mul_f32_e32 v6, v4, v5
	v_fma_f32 v7, -v2, v6, v4
	v_fmac_f32_e32 v6, v7, v5
	v_fma_f32 v2, -v2, v6, v4
	v_div_fmas_f32 v2, v2, v5, v6
	v_lshl_add_u32 v4, v0, 2, s4
	v_div_fixup_f32 v1, v2, v1, v3
	ds_write_b32 v4, v1
.LBB0_27:
	s_or_b64 exec, exec, s[2:3]
	s_waitcnt lgkmcnt(0)
	s_barrier
	s_and_saveexec_b64 s[2:3], s[0:1]
	s_cbranch_execz .LBB0_33
; %bb.28:
	s_cmp_lt_i32 s12, 1
	s_mul_i32 s0, s24, s14
	s_cbranch_scc1 .LBB0_31
; %bb.29:
	s_mul_i32 s1, s0, s12
	s_add_i32 s1, s1, s10
	v_add_u32_e32 v1, s1, v0
	v_mov_b32_e32 v3, 0
	v_mov_b32_e32 v4, s19
.LBB0_30:                               ; =>This Inner Loop Header: Depth=1
	v_ashrrev_i32_e32 v2, 31, v1
	v_lshlrev_b64 v[5:6], 2, v[1:2]
	s_add_i32 s12, s12, -1
	v_add_co_u32_e32 v5, vcc, s18, v5
	v_addc_co_u32_e32 v6, vcc, v4, v6, vcc
	global_load_dword v2, v[5:6], off
	v_mov_b32_e32 v5, s4
	ds_read_b32 v5, v5
	s_add_i32 s4, s4, 4
	v_add_u32_e32 v1, s14, v1
	s_cmp_eq_u32 s12, 0
	s_waitcnt vmcnt(0) lgkmcnt(0)
	v_fmac_f32_e32 v3, v5, v2
	s_cbranch_scc0 .LBB0_30
	s_branch .LBB0_32
.LBB0_31:
	v_mov_b32_e32 v3, 0
.LBB0_32:
	s_add_i32 s0, s10, s0
	v_add_u32_e32 v0, s0, v0
	v_mov_b32_e32 v1, 0
	v_lshlrev_b64 v[0:1], 2, v[0:1]
	v_mov_b32_e32 v2, s17
	v_add_co_u32_e32 v0, vcc, s16, v0
	v_addc_co_u32_e32 v1, vcc, v2, v1, vcc
	global_store_dword v[0:1], v3, off
.LBB0_33:
	s_endpgm
	.section	.rodata,"a",@progbits
	.p2align	6, 0x0
	.amdhsa_kernel _Z3mhaPKfS0_S0_iiiiifiPf
		.amdhsa_group_segment_fixed_size 24
		.amdhsa_private_segment_fixed_size 0
		.amdhsa_kernarg_size 64
		.amdhsa_user_sgpr_count 6
		.amdhsa_user_sgpr_private_segment_buffer 1
		.amdhsa_user_sgpr_dispatch_ptr 0
		.amdhsa_user_sgpr_queue_ptr 0
		.amdhsa_user_sgpr_kernarg_segment_ptr 1
		.amdhsa_user_sgpr_dispatch_id 0
		.amdhsa_user_sgpr_flat_scratch_init 0
		.amdhsa_user_sgpr_private_segment_size 0
		.amdhsa_uses_dynamic_stack 0
		.amdhsa_system_sgpr_private_segment_wavefront_offset 0
		.amdhsa_system_sgpr_workgroup_id_x 1
		.amdhsa_system_sgpr_workgroup_id_y 0
		.amdhsa_system_sgpr_workgroup_id_z 0
		.amdhsa_system_sgpr_workgroup_info 0
		.amdhsa_system_vgpr_workitem_id 0
		.amdhsa_next_free_vgpr 23
		.amdhsa_next_free_sgpr 28
		.amdhsa_reserve_vcc 1
		.amdhsa_reserve_flat_scratch 0
		.amdhsa_float_round_mode_32 0
		.amdhsa_float_round_mode_16_64 0
		.amdhsa_float_denorm_mode_32 3
		.amdhsa_float_denorm_mode_16_64 3
		.amdhsa_dx10_clamp 1
		.amdhsa_ieee_mode 1
		.amdhsa_fp16_overflow 0
		.amdhsa_exception_fp_ieee_invalid_op 0
		.amdhsa_exception_fp_denorm_src 0
		.amdhsa_exception_fp_ieee_div_zero 0
		.amdhsa_exception_fp_ieee_overflow 0
		.amdhsa_exception_fp_ieee_underflow 0
		.amdhsa_exception_fp_ieee_inexact 0
		.amdhsa_exception_int_div_zero 0
	.end_amdhsa_kernel
	.text
.Lfunc_end0:
	.size	_Z3mhaPKfS0_S0_iiiiifiPf, .Lfunc_end0-_Z3mhaPKfS0_S0_iiiiifiPf
                                        ; -- End function
	.set _Z3mhaPKfS0_S0_iiiiifiPf.num_vgpr, 23
	.set _Z3mhaPKfS0_S0_iiiiifiPf.num_agpr, 0
	.set _Z3mhaPKfS0_S0_iiiiifiPf.numbered_sgpr, 28
	.set _Z3mhaPKfS0_S0_iiiiifiPf.num_named_barrier, 0
	.set _Z3mhaPKfS0_S0_iiiiifiPf.private_seg_size, 0
	.set _Z3mhaPKfS0_S0_iiiiifiPf.uses_vcc, 1
	.set _Z3mhaPKfS0_S0_iiiiifiPf.uses_flat_scratch, 0
	.set _Z3mhaPKfS0_S0_iiiiifiPf.has_dyn_sized_stack, 0
	.set _Z3mhaPKfS0_S0_iiiiifiPf.has_recursion, 0
	.set _Z3mhaPKfS0_S0_iiiiifiPf.has_indirect_call, 0
	.section	.AMDGPU.csdata,"",@progbits
; Kernel info:
; codeLenInByte = 1900
; TotalNumSgprs: 32
; NumVgprs: 23
; ScratchSize: 0
; MemoryBound: 0
; FloatMode: 240
; IeeeMode: 1
; LDSByteSize: 24 bytes/workgroup (compile time only)
; SGPRBlocks: 3
; VGPRBlocks: 5
; NumSGPRsForWavesPerEU: 32
; NumVGPRsForWavesPerEU: 23
; Occupancy: 10
; WaveLimiterHint : 0
; COMPUTE_PGM_RSRC2:SCRATCH_EN: 0
; COMPUTE_PGM_RSRC2:USER_SGPR: 6
; COMPUTE_PGM_RSRC2:TRAP_HANDLER: 0
; COMPUTE_PGM_RSRC2:TGID_X_EN: 1
; COMPUTE_PGM_RSRC2:TGID_Y_EN: 0
; COMPUTE_PGM_RSRC2:TGID_Z_EN: 0
; COMPUTE_PGM_RSRC2:TIDIG_COMP_CNT: 0
	.section	.AMDGPU.gpr_maximums,"",@progbits
	.set amdgpu.max_num_vgpr, 0
	.set amdgpu.max_num_agpr, 0
	.set amdgpu.max_num_sgpr, 0
	.section	.AMDGPU.csdata,"",@progbits
	.type	__hip_cuid_2ce2848441f78c59,@object ; @__hip_cuid_2ce2848441f78c59
	.section	.bss,"aw",@nobits
	.globl	__hip_cuid_2ce2848441f78c59
__hip_cuid_2ce2848441f78c59:
	.byte	0                               ; 0x0
	.size	__hip_cuid_2ce2848441f78c59, 1

	.ident	"AMD clang version 22.0.0git (https://github.com/RadeonOpenCompute/llvm-project roc-7.2.4 26084 f58b06dce1f9c15707c5f808fd002e18c2accf7e)"
	.section	".note.GNU-stack","",@progbits
	.addrsig
	.addrsig_sym __hip_cuid_2ce2848441f78c59
	.amdgpu_metadata
---
amdhsa.kernels:
  - .args:
      - .actual_access:  read_only
        .address_space:  global
        .offset:         0
        .size:           8
        .value_kind:     global_buffer
      - .actual_access:  read_only
        .address_space:  global
        .offset:         8
        .size:           8
        .value_kind:     global_buffer
      - .actual_access:  read_only
        .address_space:  global
        .offset:         16
        .size:           8
        .value_kind:     global_buffer
      - .offset:         24
        .size:           4
        .value_kind:     by_value
      - .offset:         28
        .size:           4
        .value_kind:     by_value
      - .offset:         32
        .size:           4
        .value_kind:     by_value
      - .offset:         36
        .size:           4
        .value_kind:     by_value
      - .offset:         40
        .size:           4
        .value_kind:     by_value
      - .offset:         44
        .size:           4
        .value_kind:     by_value
      - .offset:         48
        .size:           4
        .value_kind:     by_value
      - .actual_access:  write_only
        .address_space:  global
        .offset:         56
        .size:           8
        .value_kind:     global_buffer
    .group_segment_fixed_size: 24
    .kernarg_segment_align: 8
    .kernarg_segment_size: 64
    .language:       OpenCL C
    .language_version:
      - 2
      - 0
    .max_flat_workgroup_size: 1024
    .name:           _Z3mhaPKfS0_S0_iiiiifiPf
    .private_segment_fixed_size: 0
    .sgpr_count:     32
    .sgpr_spill_count: 0
    .symbol:         _Z3mhaPKfS0_S0_iiiiifiPf.kd
    .uniform_work_group_size: 1
    .uses_dynamic_stack: false
    .vgpr_count:     23
    .vgpr_spill_count: 0
    .wavefront_size: 64
amdhsa.target:   amdgcn-amd-amdhsa--gfx906
amdhsa.version:
  - 1
  - 2
...

	.end_amdgpu_metadata
